;; amdgpu-corpus repo=ROCm/rocFFT kind=compiled arch=gfx950 opt=O3
	.text
	.amdgcn_target "amdgcn-amd-amdhsa--gfx950"
	.amdhsa_code_object_version 6
	.protected	fft_rtc_fwd_len1980_factors_11_2_3_3_5_2_wgs_198_tpt_198_halfLds_half_ip_CI_sbrr_dirReg ; -- Begin function fft_rtc_fwd_len1980_factors_11_2_3_3_5_2_wgs_198_tpt_198_halfLds_half_ip_CI_sbrr_dirReg
	.globl	fft_rtc_fwd_len1980_factors_11_2_3_3_5_2_wgs_198_tpt_198_halfLds_half_ip_CI_sbrr_dirReg
	.p2align	8
	.type	fft_rtc_fwd_len1980_factors_11_2_3_3_5_2_wgs_198_tpt_198_halfLds_half_ip_CI_sbrr_dirReg,@function
fft_rtc_fwd_len1980_factors_11_2_3_3_5_2_wgs_198_tpt_198_halfLds_half_ip_CI_sbrr_dirReg: ; @fft_rtc_fwd_len1980_factors_11_2_3_3_5_2_wgs_198_tpt_198_halfLds_half_ip_CI_sbrr_dirReg
; %bb.0:
	s_load_dwordx2 s[12:13], s[0:1], 0x18
	s_load_dwordx4 s[4:7], s[0:1], 0x0
	s_load_dwordx2 s[10:11], s[0:1], 0x50
	v_mul_u32_u24_e32 v1, 0x14b, v0
	v_add_u32_sdwa v6, s2, v1 dst_sel:DWORD dst_unused:UNUSED_PAD src0_sel:DWORD src1_sel:WORD_1
	s_waitcnt lgkmcnt(0)
	s_load_dwordx2 s[8:9], s[12:13], 0x0
	v_mov_b32_e32 v4, 0
	v_cmp_lt_u64_e64 s[2:3], s[6:7], 2
	v_mov_b32_e32 v7, v4
	s_and_b64 vcc, exec, s[2:3]
	v_mov_b64_e32 v[2:3], 0
	s_cbranch_vccnz .LBB0_8
; %bb.1:
	s_load_dwordx2 s[2:3], s[0:1], 0x10
	s_add_u32 s14, s12, 8
	s_addc_u32 s15, s13, 0
	s_mov_b64 s[16:17], 1
	v_mov_b64_e32 v[2:3], 0
	s_waitcnt lgkmcnt(0)
	s_add_u32 s18, s2, 8
	s_addc_u32 s19, s3, 0
.LBB0_2:                                ; =>This Inner Loop Header: Depth=1
	s_load_dwordx2 s[20:21], s[18:19], 0x0
                                        ; implicit-def: $vgpr8_vgpr9
	s_waitcnt lgkmcnt(0)
	v_or_b32_e32 v5, s21, v7
	v_cmp_ne_u64_e32 vcc, 0, v[4:5]
	s_and_saveexec_b64 s[2:3], vcc
	s_xor_b64 s[22:23], exec, s[2:3]
	s_cbranch_execz .LBB0_4
; %bb.3:                                ;   in Loop: Header=BB0_2 Depth=1
	v_cvt_f32_u32_e32 v1, s20
	v_cvt_f32_u32_e32 v5, s21
	s_sub_u32 s2, 0, s20
	s_subb_u32 s3, 0, s21
	v_fmac_f32_e32 v1, 0x4f800000, v5
	v_rcp_f32_e32 v1, v1
	s_nop 0
	v_mul_f32_e32 v1, 0x5f7ffffc, v1
	v_mul_f32_e32 v5, 0x2f800000, v1
	v_trunc_f32_e32 v5, v5
	v_fmac_f32_e32 v1, 0xcf800000, v5
	v_cvt_u32_f32_e32 v5, v5
	v_cvt_u32_f32_e32 v1, v1
	v_mul_lo_u32 v8, s2, v5
	v_mul_hi_u32 v10, s2, v1
	v_mul_lo_u32 v9, s3, v1
	v_add_u32_e32 v10, v10, v8
	v_mul_lo_u32 v12, s2, v1
	v_add_u32_e32 v13, v10, v9
	v_mul_hi_u32 v8, v1, v12
	v_mul_hi_u32 v11, v1, v13
	v_mul_lo_u32 v10, v1, v13
	v_mov_b32_e32 v9, v4
	v_lshl_add_u64 v[8:9], v[8:9], 0, v[10:11]
	v_mul_hi_u32 v11, v5, v12
	v_mul_lo_u32 v12, v5, v12
	v_add_co_u32_e32 v8, vcc, v8, v12
	v_mul_hi_u32 v10, v5, v13
	s_nop 0
	v_addc_co_u32_e32 v8, vcc, v9, v11, vcc
	v_mov_b32_e32 v9, v4
	s_nop 0
	v_addc_co_u32_e32 v11, vcc, 0, v10, vcc
	v_mul_lo_u32 v10, v5, v13
	v_lshl_add_u64 v[8:9], v[8:9], 0, v[10:11]
	v_add_co_u32_e32 v1, vcc, v1, v8
	v_mul_lo_u32 v10, s2, v1
	s_nop 0
	v_addc_co_u32_e32 v5, vcc, v5, v9, vcc
	v_mul_lo_u32 v8, s2, v5
	v_mul_hi_u32 v9, s2, v1
	v_add_u32_e32 v8, v9, v8
	v_mul_lo_u32 v9, s3, v1
	v_add_u32_e32 v12, v8, v9
	v_mul_hi_u32 v14, v5, v10
	v_mul_lo_u32 v15, v5, v10
	v_mul_hi_u32 v9, v1, v12
	v_mul_lo_u32 v8, v1, v12
	v_mul_hi_u32 v10, v1, v10
	v_mov_b32_e32 v11, v4
	v_lshl_add_u64 v[8:9], v[10:11], 0, v[8:9]
	v_add_co_u32_e32 v8, vcc, v8, v15
	v_mul_hi_u32 v13, v5, v12
	s_nop 0
	v_addc_co_u32_e32 v8, vcc, v9, v14, vcc
	v_mul_lo_u32 v10, v5, v12
	s_nop 0
	v_addc_co_u32_e32 v11, vcc, 0, v13, vcc
	v_mov_b32_e32 v9, v4
	v_lshl_add_u64 v[8:9], v[8:9], 0, v[10:11]
	v_add_co_u32_e32 v1, vcc, v1, v8
	v_mul_hi_u32 v10, v6, v1
	s_nop 0
	v_addc_co_u32_e32 v5, vcc, v5, v9, vcc
	v_mad_u64_u32 v[8:9], s[2:3], v6, v5, 0
	v_mov_b32_e32 v11, v4
	v_lshl_add_u64 v[8:9], v[10:11], 0, v[8:9]
	v_mad_u64_u32 v[12:13], s[2:3], v7, v1, 0
	v_add_co_u32_e32 v1, vcc, v8, v12
	v_mad_u64_u32 v[10:11], s[2:3], v7, v5, 0
	s_nop 0
	v_addc_co_u32_e32 v8, vcc, v9, v13, vcc
	v_mov_b32_e32 v9, v4
	s_nop 0
	v_addc_co_u32_e32 v11, vcc, 0, v11, vcc
	v_lshl_add_u64 v[8:9], v[8:9], 0, v[10:11]
	v_mul_lo_u32 v1, s21, v8
	v_mul_lo_u32 v5, s20, v9
	v_mad_u64_u32 v[10:11], s[2:3], s20, v8, 0
	v_add3_u32 v1, v11, v5, v1
	v_sub_u32_e32 v5, v7, v1
	v_mov_b32_e32 v11, s21
	v_sub_co_u32_e32 v14, vcc, v6, v10
	v_lshl_add_u64 v[12:13], v[8:9], 0, 1
	s_nop 0
	v_subb_co_u32_e64 v5, s[2:3], v5, v11, vcc
	v_subrev_co_u32_e64 v10, s[2:3], s20, v14
	v_subb_co_u32_e32 v1, vcc, v7, v1, vcc
	s_nop 0
	v_subbrev_co_u32_e64 v5, s[2:3], 0, v5, s[2:3]
	v_cmp_le_u32_e64 s[2:3], s21, v5
	v_cmp_le_u32_e32 vcc, s21, v1
	s_nop 0
	v_cndmask_b32_e64 v11, 0, -1, s[2:3]
	v_cmp_le_u32_e64 s[2:3], s20, v10
	s_nop 1
	v_cndmask_b32_e64 v10, 0, -1, s[2:3]
	v_cmp_eq_u32_e64 s[2:3], s21, v5
	s_nop 1
	v_cndmask_b32_e64 v5, v11, v10, s[2:3]
	v_lshl_add_u64 v[10:11], v[8:9], 0, 2
	v_cmp_ne_u32_e64 s[2:3], 0, v5
	s_nop 1
	v_cndmask_b32_e64 v5, v13, v11, s[2:3]
	v_cndmask_b32_e64 v11, 0, -1, vcc
	v_cmp_le_u32_e32 vcc, s20, v14
	s_nop 1
	v_cndmask_b32_e64 v13, 0, -1, vcc
	v_cmp_eq_u32_e32 vcc, s21, v1
	s_nop 1
	v_cndmask_b32_e32 v1, v11, v13, vcc
	v_cmp_ne_u32_e32 vcc, 0, v1
	v_cndmask_b32_e64 v1, v12, v10, s[2:3]
	s_nop 0
	v_cndmask_b32_e32 v9, v9, v5, vcc
	v_cndmask_b32_e32 v8, v8, v1, vcc
.LBB0_4:                                ;   in Loop: Header=BB0_2 Depth=1
	s_andn2_saveexec_b64 s[2:3], s[22:23]
	s_cbranch_execz .LBB0_6
; %bb.5:                                ;   in Loop: Header=BB0_2 Depth=1
	v_cvt_f32_u32_e32 v1, s20
	s_sub_i32 s22, 0, s20
	v_rcp_iflag_f32_e32 v1, v1
	s_nop 0
	v_mul_f32_e32 v1, 0x4f7ffffe, v1
	v_cvt_u32_f32_e32 v1, v1
	v_mul_lo_u32 v5, s22, v1
	v_mul_hi_u32 v5, v1, v5
	v_add_u32_e32 v1, v1, v5
	v_mul_hi_u32 v1, v6, v1
	v_mul_lo_u32 v5, v1, s20
	v_sub_u32_e32 v5, v6, v5
	v_add_u32_e32 v8, 1, v1
	v_subrev_u32_e32 v9, s20, v5
	v_cmp_le_u32_e32 vcc, s20, v5
	s_nop 1
	v_cndmask_b32_e32 v5, v5, v9, vcc
	v_cndmask_b32_e32 v1, v1, v8, vcc
	v_add_u32_e32 v8, 1, v1
	v_cmp_le_u32_e32 vcc, s20, v5
	v_mov_b32_e32 v9, v4
	s_nop 0
	v_cndmask_b32_e32 v8, v1, v8, vcc
.LBB0_6:                                ;   in Loop: Header=BB0_2 Depth=1
	s_or_b64 exec, exec, s[2:3]
	v_mad_u64_u32 v[10:11], s[2:3], v8, s20, 0
	s_load_dwordx2 s[2:3], s[14:15], 0x0
	v_mul_lo_u32 v1, v9, s20
	v_mul_lo_u32 v5, v8, s21
	v_add3_u32 v1, v11, v5, v1
	v_sub_co_u32_e32 v5, vcc, v6, v10
	s_add_u32 s16, s16, 1
	s_nop 0
	v_subb_co_u32_e32 v1, vcc, v7, v1, vcc
	s_addc_u32 s17, s17, 0
	s_waitcnt lgkmcnt(0)
	v_mul_lo_u32 v1, s2, v1
	v_mul_lo_u32 v6, s3, v5
	v_mad_u64_u32 v[2:3], s[2:3], s2, v5, v[2:3]
	s_add_u32 s14, s14, 8
	v_add3_u32 v3, v6, v3, v1
	s_addc_u32 s15, s15, 0
	v_mov_b64_e32 v[6:7], s[6:7]
	s_add_u32 s18, s18, 8
	v_cmp_ge_u64_e32 vcc, s[16:17], v[6:7]
	s_addc_u32 s19, s19, 0
	s_cbranch_vccnz .LBB0_9
; %bb.7:                                ;   in Loop: Header=BB0_2 Depth=1
	v_mov_b64_e32 v[6:7], v[8:9]
	s_branch .LBB0_2
.LBB0_8:
	v_mov_b64_e32 v[8:9], v[6:7]
.LBB0_9:
	s_lshl_b64 s[2:3], s[6:7], 3
	s_add_u32 s2, s12, s2
	s_addc_u32 s3, s13, s3
	s_load_dwordx2 s[6:7], s[2:3], 0x0
	s_load_dwordx2 s[12:13], s[0:1], 0x20
	v_mov_b32_e32 v7, 0
	v_mov_b32_e32 v21, 0
                                        ; implicit-def: $vgpr11
                                        ; implicit-def: $vgpr14
                                        ; implicit-def: $vgpr10
                                        ; implicit-def: $vgpr15
                                        ; implicit-def: $vgpr12
                                        ; implicit-def: $vgpr16
                                        ; implicit-def: $vgpr13
                                        ; implicit-def: $vgpr17
                                        ; implicit-def: $vgpr20
                                        ; implicit-def: $vgpr18
                                        ; implicit-def: $vgpr23
                                        ; implicit-def: $vgpr19
                                        ; implicit-def: $vgpr24
                                        ; implicit-def: $vgpr22
                                        ; implicit-def: $vgpr25
	s_waitcnt lgkmcnt(0)
	v_mad_u64_u32 v[4:5], s[0:1], s6, v8, v[2:3]
	v_mul_lo_u32 v1, s6, v9
	v_mul_lo_u32 v6, s7, v8
	s_mov_b32 s0, 0x14afd6b
	v_add3_u32 v5, v6, v5, v1
	v_mul_hi_u32 v1, v0, s0
	v_mul_u32_u24_e32 v1, 0xc6, v1
	v_sub_u32_e32 v2, v0, v1
	s_movk_i32 s0, 0xb4
	v_cmp_gt_u64_e32 vcc, s[12:13], v[8:9]
	v_cmp_gt_u32_e64 s[0:1], s0, v2
	s_and_b64 s[6:7], vcc, s[0:1]
	v_lshl_add_u64 v[0:1], v[4:5], 2, s[10:11]
                                        ; implicit-def: $vgpr8
                                        ; implicit-def: $vgpr4
                                        ; implicit-def: $vgpr9
                                        ; implicit-def: $vgpr5
                                        ; implicit-def: $vgpr6
	s_and_saveexec_b64 s[2:3], s[6:7]
	s_cbranch_execz .LBB0_11
; %bb.10:
	v_mad_u64_u32 v[4:5], s[6:7], s8, v2, 0
	v_mov_b32_e32 v6, v5
	v_mad_u64_u32 v[6:7], s[6:7], s9, v2, v[6:7]
	v_mov_b32_e32 v5, v6
	v_add_u32_e32 v3, 0xb4, v2
	v_lshl_add_u64 v[8:9], v[4:5], 2, v[0:1]
	v_mad_u64_u32 v[4:5], s[6:7], s8, v3, 0
	v_mov_b32_e32 v6, v5
	v_mad_u64_u32 v[6:7], s[6:7], s9, v3, v[6:7]
	v_mov_b32_e32 v5, v6
	v_add_u32_e32 v3, 0x168, v2
	v_lshl_add_u64 v[14:15], v[4:5], 2, v[0:1]
	;; [unrolled: 6-line block ×8, first 2 shown]
	global_load_dword v21, v[8:9], off
	global_load_dword v4, v[14:15], off
	;; [unrolled: 1-line block ×8, first 2 shown]
	v_mad_u64_u32 v[8:9], s[6:7], s8, v3, 0
	v_mov_b32_e32 v14, v9
	v_mad_u64_u32 v[14:15], s[6:7], s9, v3, v[14:15]
	v_add_u32_e32 v3, 0x654, v2
	v_mov_b32_e32 v9, v14
	v_mad_u64_u32 v[14:15], s[6:7], s8, v3, 0
	v_mov_b32_e32 v16, v15
	v_mad_u64_u32 v[16:17], s[6:7], s9, v3, v[16:17]
	v_add_u32_e32 v3, 0x708, v2
	v_mov_b32_e32 v15, v16
	v_mad_u64_u32 v[16:17], s[6:7], s8, v3, 0
	v_mov_b32_e32 v18, v17
	v_mad_u64_u32 v[18:19], s[6:7], s9, v3, v[18:19]
	v_lshl_add_u64 v[8:9], v[8:9], 2, v[0:1]
	v_mov_b32_e32 v17, v18
	v_lshl_add_u64 v[14:15], v[14:15], 2, v[0:1]
	v_lshl_add_u64 v[16:17], v[16:17], 2, v[0:1]
	global_load_dword v23, v[8:9], off
	global_load_dword v24, v[14:15], off
	;; [unrolled: 1-line block ×3, first 2 shown]
	s_waitcnt vmcnt(10)
	v_lshrrev_b32_e32 v7, 16, v21
	s_waitcnt vmcnt(9)
	v_lshrrev_b32_e32 v8, 16, v4
	;; [unrolled: 2-line block ×11, first 2 shown]
.LBB0_11:
	s_or_b64 exec, exec, s[2:3]
	v_add_f16_e32 v26, v4, v25
	v_sub_f16_e32 v36, v8, v22
	v_mul_f16_e32 v31, 0x3abb, v26
	s_mov_b32 s2, 0xb853
	v_add_f16_e32 v27, v5, v24
	v_fma_f16 v3, v36, s2, v31
	v_sub_f16_e32 v37, v9, v19
	v_mul_f16_e32 v32, 0x36a6, v27
	s_mov_b32 s2, 0xbb47
	v_add_f16_e32 v3, v21, v3
	v_fma_f16 v28, v37, s2, v32
	v_add_f16_e32 v3, v28, v3
	v_add_f16_e32 v28, v6, v23
	v_sub_f16_e32 v38, v11, v18
	v_mul_f16_e32 v33, 0xb08e, v28
	s_mov_b32 s2, 0xbbeb
	v_fma_f16 v29, v38, s2, v33
	v_add_f16_e32 v3, v29, v3
	v_add_f16_e32 v29, v10, v20
	v_sub_f16_e32 v39, v14, v17
	v_mul_f16_e32 v34, 0xb93d, v29
	s_mov_b32 s2, 0xba0c
	;; [unrolled: 6-line block ×3, first 2 shown]
	v_fma_f16 v41, v40, s2, v35
	s_movk_i32 s6, 0x3abb
	s_movk_i32 s7, 0x36a6
	s_mov_b32 s10, 0xb08e
	s_mov_b32 s11, 0xb93d
	;; [unrolled: 1-line block ×3, first 2 shown]
	v_add_f16_e32 v3, v41, v3
	s_and_saveexec_b64 s[2:3], s[0:1]
	s_cbranch_execz .LBB0_13
; %bb.12:
	v_mul_f16_e32 v47, 0xb482, v36
	v_mul_f16_e32 v49, 0x3853, v37
	v_fma_f16 v56, v26, s12, -v47
	v_mul_f16_e32 v51, 0xba0c, v38
	v_add_f16_e32 v56, v21, v56
	v_fma_f16 v57, v27, s6, -v49
	v_mul_f16_e32 v53, 0x3b47, v39
	v_add_f16_e32 v56, v57, v56
	;; [unrolled: 3-line block ×3, first 2 shown]
	v_fma_f16 v57, v29, s7, -v53
	v_add_f16_e32 v56, v57, v56
	v_fma_f16 v57, v30, s10, -v55
	s_mov_b32 s13, 0xb93db08e
	s_mov_b32 s14, 0xba0cbbeb
	v_add_f16_e32 v56, v57, v56
	v_pk_mul_f16 v57, v26, s13 op_sel_hi:[0,1]
	v_pk_mul_f16 v58, v36, s14 op_sel_hi:[0,1]
	s_mov_b32 s14, 0xb08ebbad
	s_mov_b32 s15, 0x3beb3482
	v_pk_mul_f16 v59, v27, s14 op_sel_hi:[0,1]
	v_pk_mul_f16 v60, v37, s15 op_sel_hi:[0,1]
	s_mov_b32 s15, 0x3abb36a6
	s_mov_b32 s16, 0xb8533b47
	v_add_f16_e32 v67, v58, v57
	v_pk_mul_f16 v61, v28, s15 op_sel_hi:[0,1]
	v_pk_mul_f16 v62, v38, s16 op_sel_hi:[0,1]
	s_mov_b32 s16, 0xbbad3abb
	s_mov_b32 s17, 0xb482b853
	v_add_f16_e32 v67, v21, v67
	v_add_f16_e32 v68, v60, v59
	v_pk_mul_f16 v63, v29, s16 op_sel_hi:[0,1]
	v_pk_mul_f16 v64, v39, s17 op_sel_hi:[0,1]
	s_mov_b32 s17, 0x36a6b93d
	s_mov_b32 s18, 0x3b47ba0c
	v_add_f16_e32 v67, v68, v67
	v_add_f16_e32 v68, v62, v61
	v_pk_mul_f16 v65, v30, s17 op_sel_hi:[0,1]
	v_pk_mul_f16 v66, v40, s18 op_sel_hi:[0,1]
	v_add_f16_e32 v67, v68, v67
	v_add_f16_e32 v68, v64, v63
	v_mul_f16_e32 v41, 0xb853, v36
	v_add_f16_e32 v67, v68, v67
	v_add_f16_e32 v68, v66, v65
	v_mul_f16_e32 v36, 0xbb47, v36
	v_mul_f16_e32 v42, 0xbb47, v37
	;; [unrolled: 1-line block ×3, first 2 shown]
	v_add_f16_e32 v67, v68, v67
	v_fma_f16 v68, v26, s7, v36
	v_mul_f16_e32 v37, 0xba0c, v37
	v_fma_f16 v36, v26, s7, -v36
	v_sub_f16_e32 v31, v31, v41
	v_pk_fma_f16 v26, v26, s13, v58 op_sel_hi:[0,1,1] neg_lo:[0,0,1] neg_hi:[0,0,1]
	v_mul_f16_e32 v43, 0xbbeb, v38
	v_mul_f16_e32 v48, 0x3abb, v27
	v_add_f16_e32 v68, v21, v68
	v_fma_f16 v69, v27, s11, v37
	v_mul_f16_e32 v38, 0x3482, v38
	v_add_f16_e32 v36, v21, v36
	v_fma_f16 v37, v27, s11, -v37
	v_add_f16_e32 v31, v21, v31
	v_sub_f16_e32 v32, v32, v42
	v_pk_add_f16 v26, v21, v26 op_sel_hi:[0,1]
	v_pk_fma_f16 v27, v27, s14, v60 op_sel_hi:[0,1,1] neg_lo:[0,0,1] neg_hi:[0,0,1]
	v_mul_f16_e32 v44, 0xba0c, v39
	v_add_f16_e32 v68, v69, v68
	v_fma_f16 v69, v28, s12, v38
	v_mul_f16_e32 v39, 0x3beb, v39
	v_add_f16_e32 v36, v37, v36
	v_fma_f16 v37, v28, s12, -v38
	v_add_f16_e32 v31, v32, v31
	v_sub_f16_e32 v32, v33, v43
	v_pk_add_f16 v26, v27, v26
	v_pk_fma_f16 v27, v28, s15, v62 op_sel_hi:[0,1,1] neg_lo:[0,0,1] neg_hi:[0,0,1]
	v_mul_f16_e32 v45, 0xb482, v40
	v_add_f16_e32 v68, v69, v68
	v_fma_f16 v69, v29, s10, v39
	v_mul_f16_e32 v40, 0x3853, v40
	v_add_f16_e32 v36, v37, v36
	v_fma_f16 v37, v29, s10, -v39
	v_add_f16_e32 v31, v32, v31
	v_sub_f16_e32 v32, v34, v44
	v_pk_add_f16 v26, v27, v26
	v_pk_fma_f16 v27, v29, s16, v64 op_sel_hi:[0,1,1] neg_lo:[0,0,1] neg_hi:[0,0,1]
	v_add_f16_e32 v68, v69, v68
	v_fma_f16 v69, v30, s6, v40
	v_add_f16_e32 v36, v37, v36
	v_fma_f16 v37, v30, s6, -v40
	v_add_f16_e32 v31, v32, v31
	v_sub_f16_e32 v32, v35, v45
	v_pk_add_f16 v26, v27, v26
	v_pk_fma_f16 v27, v30, s17, v66 op_sel_hi:[0,1,1] neg_lo:[0,0,1] neg_hi:[0,0,1]
	s_mov_b32 s6, 0xffff
	v_mul_f16_e32 v50, 0xb93d, v28
	v_add_f16_e32 v31, v32, v31
	v_add_f16_e32 v32, v21, v4
	v_pk_add_f16 v26, v27, v26
	v_bfi_b32 v27, s6, v47, v58
	v_bfi_b32 v28, s6, v46, v57
	v_add_f16_e32 v32, v32, v5
	v_pk_add_f16 v27, v27, v28
	v_add_f16_e32 v32, v32, v6
	v_pk_add_f16 v21, v21, v27 op_sel_hi:[0,1]
	v_bfi_b32 v27, s6, v49, v60
	v_bfi_b32 v28, s6, v48, v59
	v_add_f16_e32 v32, v32, v10
	v_pk_add_f16 v27, v27, v28
	v_add_f16_e32 v32, v32, v12
	v_pk_add_f16 v21, v27, v21
	v_bfi_b32 v27, s6, v51, v62
	v_bfi_b32 v28, s6, v50, v61
	v_mul_f16_e32 v52, 0x36a6, v29
	v_add_f16_e32 v32, v32, v13
	v_pk_add_f16 v27, v27, v28
	v_add_f16_e32 v32, v32, v20
	v_pk_add_f16 v21, v27, v21
	v_bfi_b32 v27, s6, v53, v64
	v_bfi_b32 v28, s6, v52, v63
	v_mul_f16_e32 v54, 0xb08e, v30
	v_add_f16_e32 v32, v32, v23
	v_pk_add_f16 v27, v27, v28
	v_add_f16_e32 v32, v32, v24
	v_pk_add_f16 v21, v27, v21
	v_bfi_b32 v27, s6, v55, v66
	v_bfi_b32 v28, s6, v54, v65
	v_add_f16_e32 v36, v37, v36
	v_add_f16_e32 v32, v32, v25
	v_pk_add_f16 v27, v27, v28
	v_mad_u32_u24 v33, v2, 22, 0
	v_pk_add_f16 v29, v27, v21
	v_alignbit_b32 v28, v56, v26, 16
	v_pack_b32_f16 v27, v36, v26
	v_pack_b32_f16 v26, v32, v31
	v_add_f16_e32 v68, v69, v68
	ds_write_b128 v33, v[26:29]
	ds_write_b16 v33, v67 offset:16
	ds_write_b16 v33, v68 offset:18
	;; [unrolled: 1-line block ×3, first 2 shown]
.LBB0_13:
	s_or_b64 exec, exec, s[2:3]
	v_sub_f16_e32 v45, v4, v25
	s_mov_b32 s2, 0xbb47b853
	v_add_f16_e32 v43, v8, v22
	v_sub_f16_e32 v44, v5, v24
	s_mov_b32 s7, 0x36a63abb
	v_pk_mul_f16 v35, v45, s2 op_sel_hi:[0,1]
	s_mov_b32 s2, 0xba0cbb47
	v_add_f16_e32 v39, v9, v19
	v_sub_f16_e32 v41, v6, v23
	s_mov_b32 s10, 0xb93d36a6
	v_pk_mul_f16 v37, v44, s2 op_sel_hi:[0,1]
	s_mov_b32 s2, 0x3482bbeb
	v_pk_fma_f16 v4, v43, s7, v35 op_sel_hi:[0,1,1] neg_lo:[0,0,1] neg_hi:[0,0,1]
	v_add_f16_e32 v34, v11, v18
	v_sub_f16_e32 v36, v10, v20
	s_mov_b32 s11, 0xbbadb08e
	v_pk_mul_f16 v38, v41, s2 op_sel_hi:[0,1]
	s_mov_b32 s2, 0x3bebba0c
	v_pk_add_f16 v4, v7, v4 op_sel_hi:[0,1]
	v_pk_fma_f16 v5, v39, s10, v37 op_sel_hi:[0,1,1] neg_lo:[0,0,1] neg_hi:[0,0,1]
	v_add_f16_e32 v33, v14, v17
	s_mov_b32 s12, 0xb08eb93d
	v_pk_mul_f16 v40, v36, s2 op_sel_hi:[0,1]
	v_pk_add_f16 v4, v5, v4
	v_pk_fma_f16 v5, v34, s11, v38 op_sel_hi:[0,1,1] neg_lo:[0,0,1] neg_hi:[0,0,1]
	v_pk_add_f16 v4, v5, v4
	v_pk_fma_f16 v5, v33, s12, v40 op_sel_hi:[0,1,1] neg_lo:[0,0,1] neg_hi:[0,0,1]
	v_pk_add_f16 v5, v5, v4
	v_add_u32_e32 v4, 0x18c, v2
	v_sub_f16_e32 v32, v12, v13
	v_lshl_add_u32 v10, v2, 1, 0
	v_add_u32_e32 v6, 0x252, v2
	v_lshl_add_u32 v12, v4, 1, 0
	s_waitcnt lgkmcnt(0)
	s_barrier
	ds_read_u16 v26, v10
	ds_read_u16 v27, v10 offset:396
	v_lshl_add_u32 v13, v6, 1, 0
	ds_read_u16 v28, v12
	ds_read_u16 v29, v13
	ds_read_u16 v24, v10 offset:2376
	ds_read_u16 v23, v10 offset:2772
	;; [unrolled: 1-line block ×6, first 2 shown]
	s_mov_b32 s2, 0x3853b482
	v_add_f16_e32 v31, v15, v16
	s_mov_b32 s13, 0x3abbbbad
	v_pk_mul_f16 v42, v32, s2 op_sel_hi:[0,1]
	v_pk_fma_f16 v46, v31, s13, v42 op_sel_hi:[0,1,1] neg_lo:[0,0,1] neg_hi:[0,0,1]
	s_mov_b32 s6, 0x5040100
	v_pk_add_f16 v5, v46, v5
	s_waitcnt lgkmcnt(0)
	s_barrier
	s_and_saveexec_b64 s[2:3], s[0:1]
	s_cbranch_execz .LBB0_15
; %bb.14:
	v_add_f16_e32 v8, v7, v8
	v_add_f16_e32 v8, v8, v9
	v_mul_f16_e32 v9, 0xb482, v45
	s_mov_b32 s0, 0xbbad
	v_add_f16_e32 v8, v8, v11
	v_fma_f16 v11, v43, s0, v9
	v_fma_f16 v9, v43, s0, -v9
	v_perm_b32 v49, v7, v7, s6
	v_add_f16_e32 v11, v7, v11
	v_add_f16_e32 v7, v7, v9
	v_mul_f16_e32 v9, 0x3853, v44
	s_movk_i32 s0, 0x3abb
	v_add_f16_e32 v8, v8, v14
	v_fma_f16 v14, v39, s0, v9
	v_fma_f16 v9, v39, s0, -v9
	v_add_f16_e32 v7, v9, v7
	v_mul_f16_e32 v9, 0xba0c, v41
	s_mov_b32 s0, 0xb93d
	v_add_f16_e32 v11, v14, v11
	v_fma_f16 v14, v34, s0, v9
	v_fma_f16 v9, v34, s0, -v9
	v_add_f16_e32 v7, v9, v7
	v_mul_f16_e32 v9, 0x3b47, v36
	s_movk_i32 s0, 0x36a6
	v_pk_mul_f16 v47, v43, s7 op_sel_hi:[0,1]
	v_add_f16_e32 v11, v14, v11
	v_fma_f16 v14, v33, s0, v9
	v_fma_f16 v9, v33, s0, -v9
	v_pk_mul_f16 v51, v39, s10 op_sel_hi:[0,1]
	v_add_f16_e32 v7, v9, v7
	v_pk_add_f16 v9, v47, v35
	v_pk_mul_f16 v54, v34, s11 op_sel_hi:[0,1]
	v_add_f16_e32 v11, v14, v11
	v_pk_add_f16 v9, v49, v9
	v_pk_add_f16 v14, v51, v37
	v_pk_mul_f16 v57, v33, s12 op_sel_hi:[0,1]
	v_pk_add_f16 v9, v14, v9
	v_pk_add_f16 v14, v54, v38
	v_pk_mul_f16 v60, v31, s13 op_sel_hi:[0,1]
	v_pk_add_f16 v9, v14, v9
	v_pk_add_f16 v14, v57, v40
	v_pack_b32_f16 v48, v45, v45
	v_pk_add_f16 v9, v14, v9
	v_pk_add_f16 v14, v60, v42
	s_mov_b32 s1, 0xba0cbbeb
	v_pack_b32_f16 v46, v43, v43
	v_pack_b32_f16 v52, v44, v44
	v_add_f16_e32 v8, v8, v15
	v_pk_add_f16 v9, v14, v9
	s_mov_b32 s0, 0xb93db08e
	v_pk_mul_f16 v14, v48, s1
	s_mov_b32 s7, 0x3beb3482
	v_pack_b32_f16 v50, v39, v39
	v_add_f16_e32 v8, v8, v16
	v_pk_fma_f16 v15, v46, s0, v14
	s_mov_b32 s1, 0xb08ebbad
	v_pk_mul_f16 v16, v52, s7
	v_pack_b32_f16 v55, v41, v41
	v_add_f16_e32 v8, v8, v17
	v_pk_add_f16 v15, v49, v15
	v_pk_fma_f16 v17, v50, s1, v16
	s_mov_b32 s10, 0xb8533b47
	v_pack_b32_f16 v53, v34, v34
	v_pk_add_f16 v15, v17, v15
	s_mov_b32 s7, 0x3abb36a6
	v_pk_mul_f16 v17, v55, s10
	v_pack_b32_f16 v58, v36, v36
	v_add_f16_e32 v8, v8, v18
	v_pk_fma_f16 v18, v53, s7, v17
	s_mov_b32 s11, 0xb482b853
	v_pk_fma_f16 v14, v46, s0, v14 neg_lo:[0,0,1] neg_hi:[0,0,1]
	v_pack_b32_f16 v56, v33, v33
	v_pk_add_f16 v15, v18, v15
	s_mov_b32 s10, 0xbbad3abb
	v_pk_mul_f16 v18, v58, s11
	v_pk_add_f16 v14, v49, v14
	v_pk_fma_f16 v16, v50, s1, v16 neg_lo:[0,0,1] neg_hi:[0,0,1]
	v_pack_b32_f16 v61, v32, v32
	v_add_f16_e32 v8, v8, v19
	v_pk_fma_f16 v19, v56, s10, v18
	s_mov_b32 s12, 0x3b47ba0c
	v_pk_add_f16 v14, v16, v14
	v_pk_fma_f16 v16, v53, s7, v17 neg_lo:[0,0,1] neg_hi:[0,0,1]
	v_pack_b32_f16 v59, v31, v31
	v_pk_add_f16 v15, v19, v15
	s_mov_b32 s11, 0x36a6b93d
	v_pk_mul_f16 v19, v61, s12
	v_pk_add_f16 v14, v16, v14
	v_pk_fma_f16 v16, v56, s10, v18 neg_lo:[0,0,1] neg_hi:[0,0,1]
	s_mov_b32 s0, 0xb08e
	v_pk_add_f16 v14, v16, v14
	v_pk_fma_f16 v16, v59, s11, v19 neg_lo:[0,0,1] neg_hi:[0,0,1]
	v_add_f16_e32 v8, v8, v22
	v_pk_add_f16 v17, v16, v14
	v_mul_f16_e32 v14, 0xbbeb, v32
	v_pk_fma_f16 v22, v59, s11, v19
	v_fma_f16 v16, v31, s0, v14
	v_pk_add_f16 v15, v22, v15
	v_add_f16_e32 v11, v16, v11
	v_fma_f16 v14, v31, s0, -v14
	v_add_f16_e32 v7, v14, v7
	v_mad_u32_u24 v18, v2, 20, v10
	v_alignbit_b32 v16, v11, v15, 16
	v_alignbit_b32 v15, v15, v9, 16
	v_pack_b32_f16 v14, v8, v9
	v_alignbit_b32 v8, v17, v17, 16
	v_alignbit_b32 v9, v5, v5, 16
	ds_write_b96 v18, v[14:16]
	ds_write_b16 v18, v7 offset:12
	ds_write_b64 v18, v[8:9] offset:14
.LBB0_15:
	s_or_b64 exec, exec, s[2:3]
	s_movk_i32 s0, 0x75
	v_mul_lo_u16_sdwa v7, v2, s0 dst_sel:DWORD dst_unused:UNUSED_PAD src0_sel:BYTE_0 src1_sel:DWORD
	v_sub_u16_sdwa v8, v2, v7 dst_sel:DWORD dst_unused:UNUSED_PAD src0_sel:DWORD src1_sel:BYTE_1
	v_lshrrev_b16_e32 v8, 1, v8
	v_and_b32_e32 v8, 0x7f, v8
	v_add_u16_sdwa v7, v8, v7 dst_sel:DWORD dst_unused:UNUSED_PAD src0_sel:DWORD src1_sel:BYTE_1
	v_lshrrev_b16_e32 v8, 3, v7
	v_mul_lo_u16_e32 v7, 11, v8
	v_add_u32_e32 v14, 0xc6, v2
	v_sub_u16_e32 v9, v2, v7
	v_mov_b32_e32 v7, 2
	s_mov_b32 s0, 0xba2f
	v_lshlrev_b32_sdwa v15, v7, v9 dst_sel:DWORD dst_unused:UNUSED_PAD src0_sel:DWORD src1_sel:BYTE_0
	v_mul_u32_u24_sdwa v7, v14, s0 dst_sel:DWORD dst_unused:UNUSED_PAD src0_sel:WORD_0 src1_sel:DWORD
	v_lshrrev_b32_e32 v17, 19, v7
	v_mul_lo_u16_e32 v7, 11, v17
	v_sub_u16_e32 v18, v14, v7
	v_mul_u32_u24_sdwa v7, v4, s0 dst_sel:DWORD dst_unused:UNUSED_PAD src0_sel:WORD_0 src1_sel:DWORD
	v_lshrrev_b32_e32 v22, 19, v7
	v_mul_lo_u16_e32 v7, 11, v22
	v_sub_u16_e32 v31, v4, v7
	v_mul_u32_u24_sdwa v7, v6, s0 dst_sel:DWORD dst_unused:UNUSED_PAD src0_sel:WORD_0 src1_sel:DWORD
	v_lshrrev_b32_e32 v44, 19, v7
	v_add_u32_e32 v11, 0x318, v2
	v_mul_lo_u16_e32 v7, 11, v44
	v_sub_u16_e32 v45, v6, v7
	v_mul_u32_u24_sdwa v7, v11, s0 dst_sel:DWORD dst_unused:UNUSED_PAD src0_sel:WORD_0 src1_sel:DWORD
	v_lshrrev_b32_e32 v47, 19, v7
	v_mul_lo_u16_e32 v7, 11, v47
	v_sub_u16_e32 v48, v11, v7
	s_waitcnt lgkmcnt(0)
	s_barrier
	v_lshlrev_b32_e32 v16, 2, v18
	v_lshlrev_b32_e32 v32, 2, v31
	;; [unrolled: 1-line block ×4, first 2 shown]
	global_load_dword v37, v15, s[4:5]
	global_load_dword v35, v16, s[4:5]
	;; [unrolled: 1-line block ×5, first 2 shown]
	ds_read_u16 v36, v10
	ds_read_u16 v34, v10 offset:396
	ds_read_u16 v32, v12
	ds_read_u16 v16, v13
	ds_read_u16 v42, v10 offset:2376
	ds_read_u16 v41, v10 offset:2772
	;; [unrolled: 1-line block ×6, first 2 shown]
	v_mov_b32_e32 v15, 1
	v_perm_b32 v22, v44, v22, s6
	v_mul_u32_u24_e32 v8, 44, v8
	v_lshlrev_b32_sdwa v9, v15, v9 dst_sel:DWORD dst_unused:UNUSED_PAD src0_sel:DWORD src1_sel:BYTE_0
	v_mul_u32_u24_e32 v17, 44, v17
	v_pk_mul_lo_u16 v22, v22, 44 op_sel_hi:[1,0]
	v_lshlrev_b32_e32 v18, 1, v18
	v_add3_u32 v46, 0, v8, v9
	v_and_b32_e32 v44, 0xfffc, v22
	v_lshlrev_b32_e32 v31, 1, v31
	v_lshlrev_b32_e32 v49, 1, v45
	v_add3_u32 v45, 0, v17, v18
	v_add3_u32 v44, 0, v44, v31
	v_lshrrev_b32_e32 v22, 16, v22
	s_waitcnt lgkmcnt(0)
	s_barrier
	s_movk_i32 s0, 0x42
	v_cmp_gt_u32_e64 s[0:1], s0, v2
	s_waitcnt vmcnt(4)
	v_mul_f16_sdwa v8, v43, v37 dst_sel:DWORD dst_unused:UNUSED_PAD src0_sel:DWORD src1_sel:WORD_1
	s_waitcnt vmcnt(3)
	v_mul_f16_sdwa v9, v42, v35 dst_sel:DWORD dst_unused:UNUSED_PAD src0_sel:DWORD src1_sel:WORD_1
	;; [unrolled: 2-line block ×5, first 2 shown]
	v_fma_f16 v8, v25, v37, -v8
	v_fma_f16 v9, v24, v35, -v9
	;; [unrolled: 1-line block ×5, first 2 shown]
	v_sub_f16_e32 v31, v26, v8
	v_sub_f16_e32 v9, v27, v9
	;; [unrolled: 1-line block ×5, first 2 shown]
	v_fma_f16 v18, v26, 2.0, -v31
	v_fma_f16 v26, v27, 2.0, -v9
	;; [unrolled: 1-line block ×3, first 2 shown]
	ds_write_b16 v46, v31 offset:22
	ds_write_b16 v46, v18
	ds_write_b16 v45, v26
	ds_write_b16 v45, v9 offset:22
	ds_write_b16 v44, v27
	ds_write_b16 v44, v15 offset:22
	v_mul_u32_u24_e32 v9, 44, v47
	v_lshlrev_b32_e32 v15, 1, v48
	v_fma_f16 v28, v29, 2.0, -v17
	v_fma_f16 v29, v30, 2.0, -v8
	v_add3_u32 v27, 0, v22, v49
	v_add3_u32 v47, 0, v9, v15
	ds_write_b16 v27, v28
	ds_write_b16 v27, v17 offset:22
	ds_write_b16 v47, v29
	ds_write_b16 v47, v8 offset:22
	s_waitcnt lgkmcnt(0)
	s_barrier
	ds_read_u16 v9, v10
	ds_read_u16 v26, v10 offset:1716
	ds_read_u16 v22, v10 offset:3036
	;; [unrolled: 1-line block ×7, first 2 shown]
	ds_read_u16 v15, v12
                                        ; implicit-def: $vgpr30
	s_and_saveexec_b64 s[2:3], s[0:1]
	s_cbranch_execz .LBB0_17
; %bb.16:
	ds_read_u16 v3, v10 offset:2508
	ds_read_u16 v8, v13
	ds_read_u16 v30, v10 offset:3828
.LBB0_17:
	s_or_b64 exec, exec, s[2:3]
	v_mul_f16_sdwa v20, v20, v19 dst_sel:DWORD dst_unused:UNUSED_PAD src0_sel:DWORD src1_sel:WORD_1
	v_mul_f16_sdwa v25, v25, v37 dst_sel:DWORD dst_unused:UNUSED_PAD src0_sel:DWORD src1_sel:WORD_1
	;; [unrolled: 1-line block ×4, first 2 shown]
	v_fma_f16 v19, v40, v19, v20
	v_mul_f16_sdwa v20, v21, v7 dst_sel:DWORD dst_unused:UNUSED_PAD src0_sel:DWORD src1_sel:WORD_1
	v_fma_f16 v25, v43, v37, v25
	v_fma_f16 v24, v42, v35, v24
	;; [unrolled: 1-line block ×4, first 2 shown]
	v_sub_f16_e32 v20, v36, v25
	v_sub_f16_e32 v24, v34, v24
	;; [unrolled: 1-line block ×5, first 2 shown]
	v_fma_f16 v21, v36, 2.0, -v20
	v_fma_f16 v25, v34, 2.0, -v24
	;; [unrolled: 1-line block ×5, first 2 shown]
	s_waitcnt lgkmcnt(0)
	s_barrier
	ds_write_b16 v46, v21
	ds_write_b16 v46, v20 offset:22
	ds_write_b16 v45, v25
	ds_write_b16 v45, v24 offset:22
	;; [unrolled: 2-line block ×5, first 2 shown]
	s_waitcnt lgkmcnt(0)
	s_barrier
	ds_read_u16 v19, v10
	ds_read_u16 v24, v10 offset:1716
	ds_read_u16 v23, v10 offset:3036
	ds_read_u16 v21, v10 offset:3432
	ds_read_u16 v32, v10 offset:2640
	ds_read_u16 v25, v10 offset:2112
	ds_read_u16 v33, v10 offset:1320
	ds_read_u16 v20, v10 offset:396
	ds_read_u16 v16, v12
                                        ; implicit-def: $vgpr43
	s_and_saveexec_b64 s[2:3], s[0:1]
	s_cbranch_execz .LBB0_19
; %bb.18:
	ds_read_u16 v5, v10 offset:2508
	ds_read_u16 v7, v13
	ds_read_u16 v43, v10 offset:3828
.LBB0_19:
	s_or_b64 exec, exec, s[2:3]
	v_lshrrev_b16_e32 v27, 1, v2
	v_and_b32_e32 v27, 0x7f, v27
	s_mov_b32 s2, 0xba2f
	v_mul_lo_u16_e32 v27, 0xbb, v27
	v_mul_u32_u24_sdwa v34, v14, s2 dst_sel:DWORD dst_unused:UNUSED_PAD src0_sel:WORD_0 src1_sel:DWORD
	v_lshrrev_b16_e32 v45, 11, v27
	v_lshrrev_b32_e32 v50, 20, v34
	v_mul_lo_u16_e32 v27, 22, v45
	v_mul_lo_u16_e32 v34, 22, v50
	v_sub_u16_e32 v38, v2, v27
	v_mov_b32_e32 v27, 3
	v_sub_u16_e32 v39, v14, v34
	v_mul_u32_u24_sdwa v37, v4, s2 dst_sel:DWORD dst_unused:UNUSED_PAD src0_sel:WORD_0 src1_sel:DWORD
	v_lshlrev_b32_sdwa v27, v27, v38 dst_sel:DWORD dst_unused:UNUSED_PAD src0_sel:DWORD src1_sel:BYTE_0
	v_lshlrev_b32_e32 v36, 3, v39
	v_lshrrev_b32_e32 v51, 20, v37
	global_load_dwordx2 v[34:35], v27, s[4:5] offset:44
	v_lshlrev_b32_e32 v53, 1, v39
	global_load_dwordx2 v[36:37], v36, s[4:5] offset:44
	v_mul_lo_u16_e32 v27, 22, v51
	v_sub_u16_e32 v40, v4, v27
	v_mul_u32_u24_sdwa v27, v6, s2 dst_sel:DWORD dst_unused:UNUSED_PAD src0_sel:WORD_0 src1_sel:DWORD
	v_lshlrev_b32_e32 v41, 3, v40
	v_lshrrev_b32_e32 v27, 20, v27
	global_load_dwordx2 v[46:47], v41, s[4:5] offset:44
	v_mul_lo_u16_e32 v41, 22, v27
	v_sub_u16_e32 v52, v6, v41
	v_lshlrev_b32_e32 v41, 3, v52
	global_load_dwordx2 v[48:49], v41, s[4:5] offset:44
	v_mov_b32_e32 v41, 1
	v_lshlrev_b32_e32 v54, 1, v40
	v_lshlrev_b32_sdwa v55, v41, v38 dst_sel:DWORD dst_unused:UNUSED_PAD src0_sel:DWORD src1_sel:BYTE_0
	s_movk_i32 s2, 0x3aee
	s_mov_b32 s3, 0xbaee
	s_waitcnt lgkmcnt(0)
	s_barrier
	s_waitcnt vmcnt(3)
	v_mul_f16_sdwa v38, v33, v34 dst_sel:DWORD dst_unused:UNUSED_PAD src0_sel:DWORD src1_sel:WORD_1
	v_mul_f16_sdwa v40, v31, v34 dst_sel:DWORD dst_unused:UNUSED_PAD src0_sel:DWORD src1_sel:WORD_1
	;; [unrolled: 1-line block ×3, first 2 shown]
	s_waitcnt vmcnt(2)
	v_mul_f16_sdwa v56, v24, v36 dst_sel:DWORD dst_unused:UNUSED_PAD src0_sel:DWORD src1_sel:WORD_1
	v_mul_f16_sdwa v57, v26, v36 dst_sel:DWORD dst_unused:UNUSED_PAD src0_sel:DWORD src1_sel:WORD_1
	;; [unrolled: 1-line block ×5, first 2 shown]
	s_waitcnt vmcnt(1)
	v_mul_f16_sdwa v60, v25, v46 dst_sel:DWORD dst_unused:UNUSED_PAD src0_sel:DWORD src1_sel:WORD_1
	v_mul_f16_sdwa v61, v28, v46 dst_sel:DWORD dst_unused:UNUSED_PAD src0_sel:DWORD src1_sel:WORD_1
	v_fma_f16 v39, v31, v34, -v38
	v_fma_f16 v42, v33, v34, v40
	s_waitcnt vmcnt(0)
	v_mul_f16_sdwa v64, v5, v48 dst_sel:DWORD dst_unused:UNUSED_PAD src0_sel:DWORD src1_sel:WORD_1
	v_mul_f16_sdwa v66, v43, v49 dst_sel:DWORD dst_unused:UNUSED_PAD src0_sel:DWORD src1_sel:WORD_1
	v_mul_f16_sdwa v65, v3, v48 dst_sel:DWORD dst_unused:UNUSED_PAD src0_sel:DWORD src1_sel:WORD_1
	v_mul_f16_sdwa v67, v30, v49 dst_sel:DWORD dst_unused:UNUSED_PAD src0_sel:DWORD src1_sel:WORD_1
	v_fma_f16 v41, v29, v35, -v41
	v_fma_f16 v34, v26, v36, -v56
	v_fma_f16 v38, v24, v36, v57
	v_fma_f16 v36, v22, v37, -v58
	v_fma_f16 v31, v28, v46, -v60
	;; [unrolled: 1-line block ×4, first 2 shown]
	v_mul_f16_sdwa v62, v21, v47 dst_sel:DWORD dst_unused:UNUSED_PAD src0_sel:DWORD src1_sel:WORD_1
	v_mul_f16_sdwa v63, v18, v47 dst_sel:DWORD dst_unused:UNUSED_PAD src0_sel:DWORD src1_sel:WORD_1
	v_fma_f16 v44, v32, v35, v44
	v_fma_f16 v40, v23, v37, v59
	;; [unrolled: 1-line block ×5, first 2 shown]
	v_add_f16_e32 v5, v39, v41
	v_add_f16_e32 v22, v34, v36
	;; [unrolled: 1-line block ×3, first 2 shown]
	v_fma_f16 v33, v18, v47, -v62
	v_fma_f16 v37, v21, v47, v63
	v_add_f16_e32 v3, v9, v39
	v_sub_f16_e32 v18, v42, v44
	v_sub_f16_e32 v23, v38, v40
	v_add_f16_e32 v24, v15, v31
	v_sub_f16_e32 v47, v32, v30
	v_fma_f16 v5, v5, -0.5, v9
	v_fma_f16 v9, v22, -0.5, v17
	;; [unrolled: 1-line block ×3, first 2 shown]
	v_add_f16_e32 v21, v17, v34
	v_add_f16_e32 v43, v8, v28
	v_add_f16_e32 v17, v24, v33
	v_fma_f16 v24, v18, s2, v5
	v_fma_f16 v5, v18, s3, v5
	;; [unrolled: 1-line block ×6, first 2 shown]
	v_mul_u32_u24_e32 v22, 0x84, v45
	v_add_f16_e32 v48, v3, v41
	v_add3_u32 v45, 0, v22, v55
	ds_write_b16 v45, v48
	ds_write_b16 v45, v24 offset:44
	ds_write_b16 v45, v5 offset:88
	v_mul_u32_u24_e32 v5, 0x84, v50
	v_add_f16_e32 v25, v31, v33
	v_add3_u32 v46, 0, v5, v53
	v_mul_u32_u24_e32 v5, 0x84, v51
	v_sub_f16_e32 v26, v35, v37
	v_add_f16_e32 v21, v21, v36
	v_fma_f16 v15, v25, -0.5, v15
	v_add_f16_e32 v3, v43, v29
	v_add3_u32 v47, 0, v5, v54
	v_lshlrev_b32_e32 v43, 1, v52
	v_fma_f16 v25, v26, s2, v15
	v_fma_f16 v15, v26, s3, v15
	ds_write_b16 v46, v21
	ds_write_b16 v46, v18 offset:44
	ds_write_b16 v46, v23 offset:88
	ds_write_b16 v47, v17
	ds_write_b16 v47, v25 offset:44
	ds_write_b16 v47, v15 offset:88
	s_and_saveexec_b64 s[2:3], s[0:1]
	s_cbranch_execz .LBB0_21
; %bb.20:
	v_mul_lo_u16_e32 v5, 0x42, v27
	v_lshlrev_b32_e32 v5, 1, v5
	v_add3_u32 v5, 0, v43, v5
	ds_write_b16 v5, v3
	ds_write_b16 v5, v8 offset:44
	ds_write_b16 v5, v9 offset:88
.LBB0_21:
	s_or_b64 exec, exec, s[2:3]
	s_waitcnt lgkmcnt(0)
	s_barrier
	ds_read_u16 v15, v10
	ds_read_u16 v23, v10 offset:1716
	ds_read_u16 v22, v10 offset:3036
	;; [unrolled: 1-line block ×7, first 2 shown]
	ds_read_u16 v17, v12
	s_and_saveexec_b64 s[2:3], s[0:1]
	s_cbranch_execz .LBB0_23
; %bb.22:
	ds_read_u16 v8, v10 offset:2508
	ds_read_u16 v3, v13
	ds_read_u16 v9, v10 offset:3828
.LBB0_23:
	s_or_b64 exec, exec, s[2:3]
	v_add_f16_e32 v5, v19, v42
	v_add_f16_e32 v48, v5, v44
	;; [unrolled: 1-line block ×3, first 2 shown]
	v_fma_f16 v5, v5, -0.5, v19
	v_sub_f16_e32 v19, v39, v41
	s_mov_b32 s2, 0xbaee
	s_movk_i32 s3, 0x3aee
	v_fma_f16 v39, v19, s2, v5
	v_fma_f16 v19, v19, s3, v5
	v_add_f16_e32 v5, v20, v38
	v_add_f16_e32 v41, v5, v40
	;; [unrolled: 1-line block ×3, first 2 shown]
	v_fma_f16 v5, v5, -0.5, v20
	v_sub_f16_e32 v20, v34, v36
	v_fma_f16 v34, v20, s2, v5
	v_fma_f16 v36, v20, s3, v5
	v_add_f16_e32 v5, v16, v35
	v_add_f16_e32 v38, v5, v37
	;; [unrolled: 1-line block ×3, first 2 shown]
	v_fma_f16 v5, v5, -0.5, v16
	v_sub_f16_e32 v16, v31, v33
	v_add_f16_e32 v20, v32, v30
	v_fma_f16 v31, v16, s2, v5
	v_fma_f16 v16, v16, s3, v5
	v_add_f16_e32 v5, v7, v32
	v_fma_f16 v7, v20, -0.5, v7
	v_sub_f16_e32 v28, v28, v29
	v_add_f16_e32 v5, v5, v30
	v_fma_f16 v20, v28, s2, v7
	v_fma_f16 v28, v28, s3, v7
	s_waitcnt lgkmcnt(0)
	s_barrier
	ds_write_b16 v45, v48
	ds_write_b16 v45, v39 offset:44
	ds_write_b16 v45, v19 offset:88
	ds_write_b16 v46, v41
	ds_write_b16 v46, v34 offset:44
	ds_write_b16 v46, v36 offset:88
	;; [unrolled: 3-line block ×3, first 2 shown]
	s_and_saveexec_b64 s[2:3], s[0:1]
	s_cbranch_execz .LBB0_25
; %bb.24:
	v_mul_lo_u16_e32 v7, 0x42, v27
	v_lshlrev_b32_e32 v7, 1, v7
	v_add3_u32 v7, 0, v43, v7
	ds_write_b16 v7, v5
	ds_write_b16 v7, v20 offset:44
	ds_write_b16 v7, v28 offset:88
.LBB0_25:
	s_or_b64 exec, exec, s[2:3]
	s_waitcnt lgkmcnt(0)
	s_barrier
	ds_read_u16 v16, v10
	ds_read_u16 v30, v10 offset:1716
	ds_read_u16 v29, v10 offset:3036
	;; [unrolled: 1-line block ×7, first 2 shown]
	ds_read_u16 v7, v12
	s_and_saveexec_b64 s[2:3], s[0:1]
	s_cbranch_execz .LBB0_27
; %bb.26:
	ds_read_u16 v20, v10 offset:2508
	ds_read_u16 v5, v13
	ds_read_u16 v28, v10 offset:3828
.LBB0_27:
	s_or_b64 exec, exec, s[2:3]
	s_movk_i32 s2, 0xf9
	v_mul_lo_u16_sdwa v34, v2, s2 dst_sel:DWORD dst_unused:UNUSED_PAD src0_sel:BYTE_0 src1_sel:DWORD
	s_mov_b32 s2, 0xf83f
	v_mul_u32_u24_sdwa v37, v14, s2 dst_sel:DWORD dst_unused:UNUSED_PAD src0_sel:WORD_0 src1_sel:DWORD
	v_mul_u32_u24_sdwa v43, v6, s2 dst_sel:DWORD dst_unused:UNUSED_PAD src0_sel:WORD_0 src1_sel:DWORD
	v_lshrrev_b16_e32 v34, 14, v34
	v_lshrrev_b32_e32 v46, 22, v37
	v_lshrrev_b32_e32 v44, 22, v43
	v_mul_lo_u16_e32 v35, 0x42, v34
	v_mul_lo_u16_e32 v37, 0x42, v46
	;; [unrolled: 1-line block ×3, first 2 shown]
	v_sub_u16_e32 v35, v2, v35
	v_mov_b32_e32 v36, 3
	v_sub_u16_e32 v37, v14, v37
	v_mul_u32_u24_sdwa v41, v4, s2 dst_sel:DWORD dst_unused:UNUSED_PAD src0_sel:WORD_0 src1_sel:DWORD
	v_sub_u16_e32 v48, v6, v44
	v_lshlrev_b32_sdwa v36, v36, v35 dst_sel:DWORD dst_unused:UNUSED_PAD src0_sel:DWORD src1_sel:BYTE_0
	v_lshlrev_b32_e32 v40, 3, v37
	v_lshrrev_b32_e32 v47, 22, v41
	v_lshlrev_b32_e32 v44, 3, v48
	global_load_dwordx2 v[38:39], v36, s[4:5] offset:220
	v_mov_b32_e32 v49, 1
	global_load_dwordx2 v[40:41], v40, s[4:5] offset:220
	v_mul_u32_u24_e32 v34, 0x18c, v34
	global_load_dwordx2 v[44:45], v44, s[4:5] offset:220
	v_mul_lo_u16_e32 v36, 0x42, v47
	v_sub_u16_e32 v36, v4, v36
	v_lshlrev_b32_e32 v42, 3, v36
	global_load_dwordx2 v[42:43], v42, s[4:5] offset:220
	v_lshlrev_b32_sdwa v35, v49, v35 dst_sel:DWORD dst_unused:UNUSED_PAD src0_sel:DWORD src1_sel:BYTE_0
	v_lshlrev_b32_e32 v50, 1, v36
	v_add3_u32 v34, 0, v34, v35
	v_lshlrev_b32_e32 v49, 1, v37
	s_movk_i32 s6, 0x3aee
	s_mov_b32 s7, 0xbaee
	s_waitcnt lgkmcnt(0)
	s_barrier
	s_waitcnt vmcnt(3)
	v_mul_f16_sdwa v35, v33, v38 dst_sel:DWORD dst_unused:UNUSED_PAD src0_sel:DWORD src1_sel:WORD_1
	v_mul_f16_sdwa v36, v26, v38 dst_sel:DWORD dst_unused:UNUSED_PAD src0_sel:DWORD src1_sel:WORD_1
	;; [unrolled: 1-line block ×4, first 2 shown]
	s_waitcnt vmcnt(2)
	v_mul_f16_sdwa v53, v30, v40 dst_sel:DWORD dst_unused:UNUSED_PAD src0_sel:DWORD src1_sel:WORD_1
	v_fma_f16 v35, v26, v38, -v35
	v_fma_f16 v37, v33, v38, v36
	v_fma_f16 v33, v25, v39, -v51
	v_mul_f16_sdwa v54, v23, v40 dst_sel:DWORD dst_unused:UNUSED_PAD src0_sel:DWORD src1_sel:WORD_1
	v_mul_f16_sdwa v55, v29, v41 dst_sel:DWORD dst_unused:UNUSED_PAD src0_sel:DWORD src1_sel:WORD_1
	;; [unrolled: 1-line block ×3, first 2 shown]
	s_waitcnt vmcnt(0)
	v_mul_f16_sdwa v57, v31, v42 dst_sel:DWORD dst_unused:UNUSED_PAD src0_sel:DWORD src1_sel:WORD_1
	v_mul_f16_sdwa v58, v24, v42 dst_sel:DWORD dst_unused:UNUSED_PAD src0_sel:DWORD src1_sel:WORD_1
	;; [unrolled: 1-line block ×5, first 2 shown]
	v_fma_f16 v38, v32, v39, v52
	v_fma_f16 v26, v23, v40, -v53
	v_add_f16_e32 v25, v35, v33
	v_mul_f16_sdwa v59, v27, v43 dst_sel:DWORD dst_unused:UNUSED_PAD src0_sel:DWORD src1_sel:WORD_1
	v_mul_f16_sdwa v61, v20, v44 dst_sel:DWORD dst_unused:UNUSED_PAD src0_sel:DWORD src1_sel:WORD_1
	;; [unrolled: 1-line block ×3, first 2 shown]
	v_fma_f16 v32, v30, v40, v54
	v_fma_f16 v30, v22, v41, -v55
	v_fma_f16 v36, v29, v41, v56
	v_fma_f16 v22, v24, v42, -v57
	v_fma_f16 v29, v31, v42, v58
	v_fma_f16 v31, v27, v43, v60
	;; [unrolled: 1-line block ×4, first 2 shown]
	v_add_f16_e32 v20, v15, v35
	v_sub_f16_e32 v27, v37, v38
	v_add_f16_e32 v28, v18, v26
	v_fma_f16 v15, v25, -0.5, v15
	v_add_f16_e32 v20, v20, v33
	v_add_f16_e32 v25, v28, v30
	v_fma_f16 v28, v27, s6, v15
	v_fma_f16 v15, v27, s7, v15
	v_fma_f16 v21, v21, v43, -v59
	v_add_f16_e32 v39, v26, v30
	ds_write_b16 v34, v20
	ds_write_b16 v34, v28 offset:132
	ds_write_b16 v34, v15 offset:264
	v_mul_u32_u24_e32 v15, 0x18c, v46
	v_sub_f16_e32 v40, v32, v36
	v_add_f16_e32 v41, v17, v22
	v_add_f16_e32 v42, v22, v21
	v_fma_f16 v18, v39, -0.5, v18
	v_add3_u32 v27, 0, v15, v49
	v_mul_u32_u24_e32 v15, 0x18c, v47
	v_fma_f16 v8, v8, v44, -v61
	v_fma_f16 v9, v9, v45, -v63
	v_sub_f16_e32 v43, v29, v31
	v_add_f16_e32 v39, v41, v21
	v_fma_f16 v17, v42, -0.5, v17
	v_fma_f16 v41, v40, s6, v18
	v_fma_f16 v18, v40, s7, v18
	ds_write_b16 v27, v25
	ds_write_b16 v27, v41 offset:132
	ds_write_b16 v27, v18 offset:264
	v_add3_u32 v28, 0, v15, v50
	v_lshl_add_u32 v25, v48, 1, 0
	v_fma_f16 v40, v43, s6, v17
	v_fma_f16 v17, v43, s7, v17
	ds_write_b16 v28, v39
	ds_write_b16 v28, v40 offset:132
	ds_write_b16 v28, v17 offset:264
	s_and_saveexec_b64 s[2:3], s[0:1]
	s_cbranch_execz .LBB0_29
; %bb.28:
	v_add_f16_e32 v15, v8, v9
	v_fma_f16 v15, v15, -0.5, v3
	v_add_f16_e32 v3, v3, v8
	v_sub_f16_e32 v17, v23, v24
	v_add_f16_e32 v3, v3, v9
	v_fma_f16 v18, v17, s7, v15
	v_fma_f16 v15, v17, s6, v15
	ds_write_b16 v25, v3 offset:3564
	ds_write_b16 v25, v15 offset:3696
	;; [unrolled: 1-line block ×3, first 2 shown]
.LBB0_29:
	s_or_b64 exec, exec, s[2:3]
	v_add_f16_e32 v3, v16, v37
	v_add_f16_e32 v39, v3, v38
	v_add_f16_e32 v3, v37, v38
	v_fma_f16 v3, v3, -0.5, v16
	v_sub_f16_e32 v15, v35, v33
	v_fma_f16 v33, v15, s7, v3
	v_fma_f16 v35, v15, s6, v3
	v_add_f16_e32 v3, v19, v32
	v_add_f16_e32 v37, v3, v36
	v_add_f16_e32 v3, v32, v36
	v_fma_f16 v3, v3, -0.5, v19
	v_sub_f16_e32 v15, v26, v30
	v_fma_f16 v26, v15, s7, v3
	v_fma_f16 v30, v15, s6, v3
	;; [unrolled: 7-line block ×3, first 2 shown]
	s_waitcnt lgkmcnt(0)
	s_barrier
	ds_read_u16 v7, v10
	ds_read_u16 v3, v10 offset:396
	ds_read_u16 v16, v10 offset:3168
	;; [unrolled: 1-line block ×7, first 2 shown]
	ds_read_u16 v22, v12
	ds_read_u16 v18, v10 offset:3564
	s_waitcnt lgkmcnt(0)
	s_barrier
	ds_write_b16 v34, v39
	ds_write_b16 v34, v33 offset:132
	ds_write_b16 v34, v35 offset:264
	ds_write_b16 v27, v37
	ds_write_b16 v27, v26 offset:132
	ds_write_b16 v27, v30 offset:264
	;; [unrolled: 3-line block ×3, first 2 shown]
	s_and_saveexec_b64 s[2:3], s[0:1]
	s_cbranch_execz .LBB0_31
; %bb.30:
	v_add_f16_e32 v26, v5, v23
	v_add_f16_e32 v23, v23, v24
	v_fma_f16 v5, v23, -0.5, v5
	v_sub_f16_e32 v8, v8, v9
	s_mov_b32 s0, 0xbaee
	v_add_f16_e32 v26, v26, v24
	v_fma_f16 v9, v8, s0, v5
	s_movk_i32 s0, 0x3aee
	v_fma_f16 v5, v8, s0, v5
	ds_write_b16 v25, v26 offset:3564
	ds_write_b16 v25, v9 offset:3696
	;; [unrolled: 1-line block ×3, first 2 shown]
.LBB0_31:
	s_or_b64 exec, exec, s[2:3]
	v_lshlrev_b32_e32 v8, 2, v2
	v_mov_b32_e32 v9, 0
	v_lshl_add_u64 v[24:25], v[8:9], 2, s[4:5]
	s_waitcnt lgkmcnt(0)
	s_barrier
	global_load_dwordx4 v[24:27], v[24:25], off offset:748
	ds_read_u16 v5, v10
	ds_read_u16 v8, v10 offset:396
	ds_read_u16 v23, v10 offset:3168
	;; [unrolled: 1-line block ×7, first 2 shown]
	ds_read_u16 v33, v12
	ds_read_u16 v34, v10 offset:3564
	s_movk_i32 s0, 0x3b9c
	s_mov_b32 s3, 0xbb9c
	s_movk_i32 s1, 0x38b4
	s_mov_b32 s6, 0xb8b4
	s_movk_i32 s2, 0x34f2
	s_waitcnt lgkmcnt(0)
	s_barrier
	s_waitcnt vmcnt(0)
	v_mul_f16_sdwa v35, v33, v24 dst_sel:DWORD dst_unused:UNUSED_PAD src0_sel:DWORD src1_sel:WORD_1
	v_mul_f16_sdwa v37, v31, v25 dst_sel:DWORD dst_unused:UNUSED_PAD src0_sel:DWORD src1_sel:WORD_1
	;; [unrolled: 1-line block ×12, first 2 shown]
	v_fma_f16 v22, v22, v24, -v35
	v_fma_f16 v21, v21, v25, -v37
	;; [unrolled: 1-line block ×3, first 2 shown]
	v_mul_f16_sdwa v43, v32, v24 dst_sel:DWORD dst_unused:UNUSED_PAD src0_sel:DWORD src1_sel:WORD_1
	v_mul_f16_sdwa v44, v19, v24 dst_sel:DWORD dst_unused:UNUSED_PAD src0_sel:DWORD src1_sel:WORD_1
	v_fma_f16 v33, v33, v24, v36
	v_fma_f16 v31, v31, v25, v38
	;; [unrolled: 1-line block ×3, first 2 shown]
	v_fma_f16 v16, v16, v27, -v41
	v_fma_f16 v23, v23, v27, v42
	v_fma_f16 v17, v17, v25, -v45
	v_fma_f16 v25, v30, v25, v46
	;; [unrolled: 2-line block ×3, first 2 shown]
	v_add_f16_e32 v28, v7, v22
	v_add_f16_e32 v30, v21, v20
	v_mul_f16_sdwa v49, v34, v27 dst_sel:DWORD dst_unused:UNUSED_PAD src0_sel:DWORD src1_sel:WORD_1
	v_mul_f16_sdwa v50, v18, v27 dst_sel:DWORD dst_unused:UNUSED_PAD src0_sel:DWORD src1_sel:WORD_1
	v_fma_f16 v19, v19, v24, -v43
	v_fma_f16 v24, v32, v24, v44
	v_sub_f16_e32 v32, v33, v23
	v_sub_f16_e32 v35, v22, v21
	;; [unrolled: 1-line block ×3, first 2 shown]
	v_add_f16_e32 v37, v22, v16
	v_sub_f16_e32 v38, v21, v22
	v_sub_f16_e32 v39, v20, v16
	v_add_f16_e32 v28, v28, v21
	v_fma_f16 v30, v30, -0.5, v7
	v_fma_f16 v18, v18, v27, -v49
	v_fma_f16 v27, v34, v27, v50
	v_sub_f16_e32 v34, v31, v29
	v_add_f16_e32 v40, v5, v33
	v_add_f16_e32 v41, v31, v29
	;; [unrolled: 1-line block ×3, first 2 shown]
	v_fma_f16 v7, v37, -0.5, v7
	v_add_f16_e32 v36, v38, v39
	v_add_f16_e32 v28, v28, v20
	v_fma_f16 v39, v32, s0, v30
	v_fma_f16 v30, v32, s3, v30
	v_sub_f16_e32 v22, v22, v16
	v_add_f16_e32 v37, v40, v31
	v_fma_f16 v38, v41, -0.5, v5
	v_fma_f16 v40, v34, s3, v7
	v_fma_f16 v7, v34, s0, v7
	v_add_f16_e32 v16, v28, v16
	v_fma_f16 v28, v34, s1, v39
	v_fma_f16 v30, v34, s6, v30
	;; [unrolled: 1-line block ×7, first 2 shown]
	v_sub_f16_e32 v20, v21, v20
	v_fma_f16 v34, v36, s2, v34
	v_fma_f16 v7, v36, s2, v7
	;; [unrolled: 1-line block ×3, first 2 shown]
	v_sub_f16_e32 v35, v33, v31
	v_sub_f16_e32 v36, v23, v29
	v_add_f16_e32 v35, v35, v36
	v_fma_f16 v36, v35, s2, v21
	v_fma_f16 v21, v22, s0, v38
	;; [unrolled: 1-line block ×4, first 2 shown]
	v_add_f16_e32 v21, v33, v23
	v_add_f16_e32 v37, v37, v29
	v_fma_f16 v5, v21, -0.5, v5
	v_add_f16_e32 v32, v37, v23
	v_fma_f16 v21, v20, s0, v5
	v_sub_f16_e32 v31, v31, v33
	v_sub_f16_e32 v23, v29, v23
	v_fma_f16 v21, v22, s6, v21
	v_add_f16_e32 v23, v31, v23
	v_fma_f16 v29, v23, s2, v21
	v_fma_f16 v5, v20, s3, v5
	v_add_f16_e32 v21, v17, v15
	v_fma_f16 v5, v22, s1, v5
	v_fma_f16 v21, v21, -0.5, v3
	v_sub_f16_e32 v22, v24, v27
	v_fma_f16 v5, v23, s2, v5
	v_fma_f16 v23, v22, s0, v21
	v_sub_f16_e32 v31, v25, v26
	v_sub_f16_e32 v33, v19, v17
	;; [unrolled: 1-line block ×3, first 2 shown]
	v_fma_f16 v21, v22, s3, v21
	v_fma_f16 v23, v31, s1, v23
	v_add_f16_e32 v33, v33, v37
	v_fma_f16 v21, v31, s6, v21
	v_fma_f16 v23, v33, s2, v23
	;; [unrolled: 1-line block ×3, first 2 shown]
	v_add_f16_e32 v33, v19, v18
	v_add_f16_e32 v20, v3, v19
	v_fma_f16 v3, v33, -0.5, v3
	v_fma_f16 v33, v31, s3, v3
	v_fma_f16 v3, v31, s0, v3
	;; [unrolled: 1-line block ×4, first 2 shown]
	v_add_f16_e32 v22, v8, v24
	v_add_f16_e32 v22, v22, v25
	v_add_f16_e32 v20, v20, v17
	v_add_f16_e32 v22, v22, v26
	v_add_f16_e32 v20, v20, v15
	v_add_f16_e32 v31, v22, v27
	v_add_f16_e32 v22, v25, v26
	v_add_f16_e32 v20, v20, v18
	v_sub_f16_e32 v37, v17, v19
	v_sub_f16_e32 v38, v15, v18
	v_fma_f16 v22, v22, -0.5, v8
	v_sub_f16_e32 v18, v19, v18
	v_add_f16_e32 v37, v37, v38
	v_fma_f16 v19, v18, s3, v22
	v_sub_f16_e32 v15, v17, v15
	v_fma_f16 v33, v37, s2, v33
	v_fma_f16 v3, v37, s2, v3
	;; [unrolled: 1-line block ×3, first 2 shown]
	v_sub_f16_e32 v19, v24, v25
	v_sub_f16_e32 v37, v27, v26
	v_add_f16_e32 v19, v19, v37
	v_fma_f16 v37, v19, s2, v17
	v_fma_f16 v17, v18, s0, v22
	;; [unrolled: 1-line block ×4, first 2 shown]
	v_add_f16_e32 v17, v24, v27
	v_fma_f16 v8, v17, -0.5, v8
	v_fma_f16 v17, v15, s0, v8
	v_sub_f16_e32 v19, v25, v24
	v_sub_f16_e32 v22, v26, v27
	v_fma_f16 v8, v15, s3, v8
	v_fma_f16 v17, v18, s6, v17
	v_add_f16_e32 v19, v19, v22
	v_fma_f16 v8, v18, s1, v8
	v_fma_f16 v24, v19, s2, v17
	;; [unrolled: 1-line block ×3, first 2 shown]
	ds_write_b16 v10, v16
	ds_write_b16 v10, v28 offset:396
	ds_write_b16 v10, v34 offset:792
	;; [unrolled: 1-line block ×9, first 2 shown]
	s_waitcnt lgkmcnt(0)
	s_barrier
	ds_read_u16 v8, v10
	ds_read_u16 v15, v10 offset:396
	ds_read_u16 v16, v12
	ds_read_u16 v17, v13
	ds_read_u16 v19, v10 offset:2376
	ds_read_u16 v21, v10 offset:2772
	ds_read_u16 v22, v10 offset:3168
	ds_read_u16 v23, v10 offset:3564
	ds_read_u16 v20, v10 offset:1980
	ds_read_u16 v18, v10 offset:1584
	s_waitcnt lgkmcnt(0)
	s_barrier
	ds_write_b16 v10, v32
	ds_write_b16 v10, v36 offset:396
	ds_write_b16 v10, v29 offset:792
	;; [unrolled: 1-line block ×9, first 2 shown]
	s_waitcnt lgkmcnt(0)
	s_barrier
	s_and_saveexec_b64 s[0:1], vcc
	s_cbranch_execz .LBB0_33
; %bb.32:
	v_mov_b32_e32 v3, v9
	v_lshl_add_u64 v[24:25], v[2:3], 2, s[4:5]
	v_add_co_u32_e32 v26, vcc, 0x1000, v24
	v_mov_b32_e32 v7, v9
	v_mov_b32_e32 v5, v9
	v_addc_co_u32_e32 v27, vcc, 0, v25, vcc
	v_lshl_add_u64 v[6:7], v[6:7], 2, s[4:5]
	v_lshl_add_u64 v[4:5], v[4:5], 2, s[4:5]
	global_load_dword v3, v[26:27], off offset:2988
	global_load_dword v9, v[6:7], off offset:3916
	;; [unrolled: 1-line block ×5, first 2 shown]
	v_mad_u64_u32 v[4:5], s[0:1], s8, v2, 0
	v_add_u32_e32 v40, 0x3de, v2
	ds_read_u16 v25, v13
	ds_read_u16 v31, v12
	ds_read_u16 v32, v10 offset:3564
	ds_read_u16 v33, v10 offset:3168
	;; [unrolled: 1-line block ×7, first 2 shown]
	ds_read_u16 v39, v10
	v_mov_b32_e32 v10, v5
	v_mad_u64_u32 v[12:13], s[0:1], s8, v40, 0
	v_mad_u64_u32 v[26:27], s[0:1], s9, v2, v[10:11]
	v_mov_b32_e32 v10, v13
	v_mad_u64_u32 v[6:7], s[0:1], s8, v14, 0
	v_mov_b32_e32 v5, v26
	v_mad_u64_u32 v[26:27], s[0:1], s9, v40, v[10:11]
	v_mov_b32_e32 v24, v7
	v_mov_b32_e32 v13, v26
	v_lshl_add_u64 v[4:5], v[4:5], 2, v[0:1]
	v_lshl_add_u64 v[12:13], v[12:13], 2, v[0:1]
	s_mov_b32 s3, 0x21195767
	s_movk_i32 s2, 0x3de
	s_waitcnt vmcnt(2) lgkmcnt(5)
	v_mul_f16_sdwa v40, v34, v28 dst_sel:DWORD dst_unused:UNUSED_PAD src0_sel:DWORD src1_sel:WORD_1
	v_mul_f16_sdwa v7, v32, v3 dst_sel:DWORD dst_unused:UNUSED_PAD src0_sel:DWORD src1_sel:WORD_1
	;; [unrolled: 1-line block ×4, first 2 shown]
	s_waitcnt vmcnt(0) lgkmcnt(3)
	v_mul_f16_sdwa v44, v36, v30 dst_sel:DWORD dst_unused:UNUSED_PAD src0_sel:DWORD src1_sel:WORD_1
	v_mul_f16_sdwa v45, v20, v30 dst_sel:DWORD dst_unused:UNUSED_PAD src0_sel:DWORD src1_sel:WORD_1
	;; [unrolled: 1-line block ×3, first 2 shown]
	v_fma_f16 v7, v23, v3, -v7
	v_fma_f16 v3, v3, v32, v10
	v_fma_f16 v10, v22, v9, -v26
	v_fma_f16 v20, v20, v30, -v44
	v_fma_f16 v26, v30, v36, v45
	v_fma_f16 v9, v9, v33, v27
	v_sub_f16_e32 v27, v18, v7
	v_sub_f16_e32 v7, v8, v20
	s_waitcnt lgkmcnt(0)
	v_sub_f16_e32 v20, v39, v26
	v_mul_f16_sdwa v41, v21, v28 dst_sel:DWORD dst_unused:UNUSED_PAD src0_sel:DWORD src1_sel:WORD_1
	v_mul_f16_sdwa v42, v35, v29 dst_sel:DWORD dst_unused:UNUSED_PAD src0_sel:DWORD src1_sel:WORD_1
	;; [unrolled: 1-line block ×3, first 2 shown]
	v_sub_f16_e32 v9, v25, v9
	v_fma_f16 v8, v8, 2.0, -v7
	v_fma_f16 v30, v39, 2.0, -v20
	v_fma_f16 v21, v21, v28, -v40
	v_fma_f16 v22, v28, v34, v41
	v_fma_f16 v19, v19, v29, -v42
	v_fma_f16 v23, v29, v35, v43
	v_fma_f16 v25, v25, 2.0, -v9
	v_pack_b32_f16 v8, v8, v30
	v_sub_f16_e32 v28, v37, v3
	v_sub_f16_e32 v3, v16, v21
	;; [unrolled: 1-line block ×5, first 2 shown]
	v_pack_b32_f16 v7, v7, v20
	global_store_dword v[4:5], v8, off
	global_store_dword v[12:13], v7, off
	v_mad_u64_u32 v[4:5], s[0:1], s9, v14, v[24:25]
	v_fma_f16 v15, v15, 2.0, -v19
	v_fma_f16 v29, v38, 2.0, -v22
	v_mov_b32_e32 v7, v4
	v_lshl_add_u64 v[4:5], v[6:7], 2, v[0:1]
	v_pack_b32_f16 v6, v15, v29
	v_add_u32_e32 v7, 0x4a4, v2
	global_store_dword v[4:5], v6, off
	v_mad_u64_u32 v[4:5], s[0:1], s8, v7, 0
	v_mov_b32_e32 v6, v5
	v_mad_u64_u32 v[6:7], s[0:1], s9, v7, v[6:7]
	v_mov_b32_e32 v5, v6
	v_lshl_add_u64 v[4:5], v[4:5], 2, v[0:1]
	v_pack_b32_f16 v6, v19, v22
	global_store_dword v[4:5], v6, off
	v_add_u32_e32 v4, 0x18c, v2
	v_mul_hi_u32 v5, v4, s3
	v_lshrrev_b32_e32 v5, 7, v5
	v_mad_u32_u24 v8, v5, s2, v4
	v_mad_u64_u32 v[4:5], s[0:1], s8, v8, 0
	v_mov_b32_e32 v6, v5
	v_mad_u64_u32 v[6:7], s[0:1], s9, v8, v[6:7]
	v_fma_f16 v16, v16, 2.0, -v3
	v_fma_f16 v26, v31, 2.0, -v21
	v_mov_b32_e32 v5, v6
	v_lshl_add_u64 v[4:5], v[4:5], 2, v[0:1]
	v_pack_b32_f16 v6, v16, v26
	v_add_u32_e32 v7, 0x3de, v8
	global_store_dword v[4:5], v6, off
	v_mad_u64_u32 v[4:5], s[0:1], s8, v7, 0
	v_mov_b32_e32 v6, v5
	v_mad_u64_u32 v[6:7], s[0:1], s9, v7, v[6:7]
	v_mov_b32_e32 v5, v6
	v_lshl_add_u64 v[4:5], v[4:5], 2, v[0:1]
	v_pack_b32_f16 v3, v3, v21
	v_add_u32_e32 v2, 0x252, v2
	global_store_dword v[4:5], v3, off
	v_mul_hi_u32 v3, v2, s3
	v_lshrrev_b32_e32 v3, 7, v3
	v_mad_u32_u24 v6, v3, s2, v2
	v_mad_u64_u32 v[2:3], s[0:1], s8, v6, 0
	v_mov_b32_e32 v4, v3
	v_sub_f16_e32 v10, v17, v10
	v_mad_u64_u32 v[4:5], s[0:1], s9, v6, v[4:5]
	v_fma_f16 v17, v17, 2.0, -v10
	v_mov_b32_e32 v3, v4
	v_lshl_add_u64 v[2:3], v[2:3], 2, v[0:1]
	v_pack_b32_f16 v4, v17, v25
	v_add_u32_e32 v5, 0x3de, v6
	global_store_dword v[2:3], v4, off
	v_mad_u64_u32 v[2:3], s[0:1], s8, v5, 0
	v_mov_b32_e32 v4, v3
	v_mad_u64_u32 v[4:5], s[0:1], s9, v5, v[4:5]
	v_mov_b32_e32 v3, v4
	v_lshl_add_u64 v[2:3], v[2:3], 2, v[0:1]
	v_pack_b32_f16 v4, v10, v9
	global_store_dword v[2:3], v4, off
	v_mul_hi_u32 v2, v11, s3
	v_lshrrev_b32_e32 v2, 7, v2
	v_mad_u32_u24 v6, v2, s2, v11
	v_mad_u64_u32 v[2:3], s[0:1], s8, v6, 0
	v_mov_b32_e32 v4, v3
	v_mad_u64_u32 v[4:5], s[0:1], s9, v6, v[4:5]
	v_fma_f16 v18, v18, 2.0, -v27
	v_fma_f16 v23, v37, 2.0, -v28
	v_mov_b32_e32 v3, v4
	v_lshl_add_u64 v[2:3], v[2:3], 2, v[0:1]
	v_pack_b32_f16 v4, v18, v23
	v_add_u32_e32 v5, 0x3de, v6
	global_store_dword v[2:3], v4, off
	v_mad_u64_u32 v[2:3], s[0:1], s8, v5, 0
	v_mov_b32_e32 v4, v3
	v_mad_u64_u32 v[4:5], s[0:1], s9, v5, v[4:5]
	v_mov_b32_e32 v3, v4
	v_lshl_add_u64 v[0:1], v[2:3], 2, v[0:1]
	v_pack_b32_f16 v2, v27, v28
	global_store_dword v[0:1], v2, off
.LBB0_33:
	s_endpgm
	.section	.rodata,"a",@progbits
	.p2align	6, 0x0
	.amdhsa_kernel fft_rtc_fwd_len1980_factors_11_2_3_3_5_2_wgs_198_tpt_198_halfLds_half_ip_CI_sbrr_dirReg
		.amdhsa_group_segment_fixed_size 0
		.amdhsa_private_segment_fixed_size 0
		.amdhsa_kernarg_size 88
		.amdhsa_user_sgpr_count 2
		.amdhsa_user_sgpr_dispatch_ptr 0
		.amdhsa_user_sgpr_queue_ptr 0
		.amdhsa_user_sgpr_kernarg_segment_ptr 1
		.amdhsa_user_sgpr_dispatch_id 0
		.amdhsa_user_sgpr_kernarg_preload_length 0
		.amdhsa_user_sgpr_kernarg_preload_offset 0
		.amdhsa_user_sgpr_private_segment_size 0
		.amdhsa_uses_dynamic_stack 0
		.amdhsa_enable_private_segment 0
		.amdhsa_system_sgpr_workgroup_id_x 1
		.amdhsa_system_sgpr_workgroup_id_y 0
		.amdhsa_system_sgpr_workgroup_id_z 0
		.amdhsa_system_sgpr_workgroup_info 0
		.amdhsa_system_vgpr_workitem_id 0
		.amdhsa_next_free_vgpr 70
		.amdhsa_next_free_sgpr 24
		.amdhsa_accum_offset 72
		.amdhsa_reserve_vcc 1
		.amdhsa_float_round_mode_32 0
		.amdhsa_float_round_mode_16_64 0
		.amdhsa_float_denorm_mode_32 3
		.amdhsa_float_denorm_mode_16_64 3
		.amdhsa_dx10_clamp 1
		.amdhsa_ieee_mode 1
		.amdhsa_fp16_overflow 0
		.amdhsa_tg_split 0
		.amdhsa_exception_fp_ieee_invalid_op 0
		.amdhsa_exception_fp_denorm_src 0
		.amdhsa_exception_fp_ieee_div_zero 0
		.amdhsa_exception_fp_ieee_overflow 0
		.amdhsa_exception_fp_ieee_underflow 0
		.amdhsa_exception_fp_ieee_inexact 0
		.amdhsa_exception_int_div_zero 0
	.end_amdhsa_kernel
	.text
.Lfunc_end0:
	.size	fft_rtc_fwd_len1980_factors_11_2_3_3_5_2_wgs_198_tpt_198_halfLds_half_ip_CI_sbrr_dirReg, .Lfunc_end0-fft_rtc_fwd_len1980_factors_11_2_3_3_5_2_wgs_198_tpt_198_halfLds_half_ip_CI_sbrr_dirReg
                                        ; -- End function
	.section	.AMDGPU.csdata,"",@progbits
; Kernel info:
; codeLenInByte = 10272
; NumSgprs: 30
; NumVgprs: 70
; NumAgprs: 0
; TotalNumVgprs: 70
; ScratchSize: 0
; MemoryBound: 0
; FloatMode: 240
; IeeeMode: 1
; LDSByteSize: 0 bytes/workgroup (compile time only)
; SGPRBlocks: 3
; VGPRBlocks: 8
; NumSGPRsForWavesPerEU: 30
; NumVGPRsForWavesPerEU: 70
; AccumOffset: 72
; Occupancy: 7
; WaveLimiterHint : 1
; COMPUTE_PGM_RSRC2:SCRATCH_EN: 0
; COMPUTE_PGM_RSRC2:USER_SGPR: 2
; COMPUTE_PGM_RSRC2:TRAP_HANDLER: 0
; COMPUTE_PGM_RSRC2:TGID_X_EN: 1
; COMPUTE_PGM_RSRC2:TGID_Y_EN: 0
; COMPUTE_PGM_RSRC2:TGID_Z_EN: 0
; COMPUTE_PGM_RSRC2:TIDIG_COMP_CNT: 0
; COMPUTE_PGM_RSRC3_GFX90A:ACCUM_OFFSET: 17
; COMPUTE_PGM_RSRC3_GFX90A:TG_SPLIT: 0
	.text
	.p2alignl 6, 3212836864
	.fill 256, 4, 3212836864
	.type	__hip_cuid_86e2fa1e5d26d47a,@object ; @__hip_cuid_86e2fa1e5d26d47a
	.section	.bss,"aw",@nobits
	.globl	__hip_cuid_86e2fa1e5d26d47a
__hip_cuid_86e2fa1e5d26d47a:
	.byte	0                               ; 0x0
	.size	__hip_cuid_86e2fa1e5d26d47a, 1

	.ident	"AMD clang version 19.0.0git (https://github.com/RadeonOpenCompute/llvm-project roc-6.4.0 25133 c7fe45cf4b819c5991fe208aaa96edf142730f1d)"
	.section	".note.GNU-stack","",@progbits
	.addrsig
	.addrsig_sym __hip_cuid_86e2fa1e5d26d47a
	.amdgpu_metadata
---
amdhsa.kernels:
  - .agpr_count:     0
    .args:
      - .actual_access:  read_only
        .address_space:  global
        .offset:         0
        .size:           8
        .value_kind:     global_buffer
      - .offset:         8
        .size:           8
        .value_kind:     by_value
      - .actual_access:  read_only
        .address_space:  global
        .offset:         16
        .size:           8
        .value_kind:     global_buffer
      - .actual_access:  read_only
        .address_space:  global
        .offset:         24
        .size:           8
        .value_kind:     global_buffer
      - .offset:         32
        .size:           8
        .value_kind:     by_value
      - .actual_access:  read_only
        .address_space:  global
        .offset:         40
        .size:           8
        .value_kind:     global_buffer
      - .actual_access:  read_only
        .address_space:  global
        .offset:         48
        .size:           8
        .value_kind:     global_buffer
      - .offset:         56
        .size:           4
        .value_kind:     by_value
      - .actual_access:  read_only
        .address_space:  global
        .offset:         64
        .size:           8
        .value_kind:     global_buffer
      - .actual_access:  read_only
        .address_space:  global
        .offset:         72
        .size:           8
        .value_kind:     global_buffer
      - .address_space:  global
        .offset:         80
        .size:           8
        .value_kind:     global_buffer
    .group_segment_fixed_size: 0
    .kernarg_segment_align: 8
    .kernarg_segment_size: 88
    .language:       OpenCL C
    .language_version:
      - 2
      - 0
    .max_flat_workgroup_size: 198
    .name:           fft_rtc_fwd_len1980_factors_11_2_3_3_5_2_wgs_198_tpt_198_halfLds_half_ip_CI_sbrr_dirReg
    .private_segment_fixed_size: 0
    .sgpr_count:     30
    .sgpr_spill_count: 0
    .symbol:         fft_rtc_fwd_len1980_factors_11_2_3_3_5_2_wgs_198_tpt_198_halfLds_half_ip_CI_sbrr_dirReg.kd
    .uniform_work_group_size: 1
    .uses_dynamic_stack: false
    .vgpr_count:     70
    .vgpr_spill_count: 0
    .wavefront_size: 64
amdhsa.target:   amdgcn-amd-amdhsa--gfx950
amdhsa.version:
  - 1
  - 2
...

	.end_amdgpu_metadata
